;; amdgpu-corpus repo=ROCm/rocFFT kind=compiled arch=gfx950 opt=O3
	.text
	.amdgcn_target "amdgcn-amd-amdhsa--gfx950"
	.amdhsa_code_object_version 6
	.protected	fft_rtc_back_len50_factors_2_5_5_wgs_60_tpt_10_halfLds_dim1_dp_op_CI_CI_unitstride_sbrr_C2R_dirReg ; -- Begin function fft_rtc_back_len50_factors_2_5_5_wgs_60_tpt_10_halfLds_dim1_dp_op_CI_CI_unitstride_sbrr_C2R_dirReg
	.globl	fft_rtc_back_len50_factors_2_5_5_wgs_60_tpt_10_halfLds_dim1_dp_op_CI_CI_unitstride_sbrr_C2R_dirReg
	.p2align	8
	.type	fft_rtc_back_len50_factors_2_5_5_wgs_60_tpt_10_halfLds_dim1_dp_op_CI_CI_unitstride_sbrr_C2R_dirReg,@function
fft_rtc_back_len50_factors_2_5_5_wgs_60_tpt_10_halfLds_dim1_dp_op_CI_CI_unitstride_sbrr_C2R_dirReg: ; @fft_rtc_back_len50_factors_2_5_5_wgs_60_tpt_10_halfLds_dim1_dp_op_CI_CI_unitstride_sbrr_C2R_dirReg
; %bb.0:
	v_mul_u32_u24_e32 v1, 0x199a, v0
	v_lshrrev_b32_e32 v2, 16, v1
	s_load_dwordx4 s[4:7], s[0:1], 0x18
	v_mad_u64_u32 v[8:9], s[2:3], s2, 6, v[2:3]
	s_mov_b32 s2, 0xaaaaaaab
	s_nop 0
	v_mul_hi_u32 v1, v8, s2
	v_lshrrev_b32_e32 v1, 2, v1
	v_mov_b32_e32 v9, 0
	v_mul_lo_u32 v1, v1, 6
	s_movk_i32 s8, 0x199a
	v_sub_u32_e32 v1, v8, v1
	s_waitcnt lgkmcnt(0)
	v_cmp_gt_u64_e32 vcc, s[6:7], v[8:9]
	v_cmp_le_u64_e64 s[2:3], s[6:7], v[8:9]
                                        ; implicit-def: $vgpr15
                                        ; implicit-def: $vgpr10
	s_and_saveexec_b64 s[6:7], s[2:3]
	s_xor_b64 s[2:3], exec, s[6:7]
; %bb.1:
	v_mul_u32_u24_sdwa v2, v0, s8 dst_sel:DWORD dst_unused:UNUSED_PAD src0_sel:WORD_0 src1_sel:DWORD
	v_mov_b32_e32 v3, 10
	v_mul_lo_u16_sdwa v2, v2, v3 dst_sel:DWORD dst_unused:UNUSED_PAD src0_sel:WORD_1 src1_sel:DWORD
	v_sub_u16_e32 v15, v0, v2
	v_sub_u16_e32 v10, v0, v2
                                        ; implicit-def: $vgpr2
                                        ; implicit-def: $vgpr0
; %bb.2:
	s_or_saveexec_b64 s[10:11], s[2:3]
	s_load_dwordx2 s[8:9], s[0:1], 0x0
	s_load_dwordx2 s[6:7], s[4:5], 0x8
	v_mul_u32_u24_e32 v3, 51, v1
	v_lshlrev_b32_e32 v13, 4, v3
	s_xor_b64 exec, exec, s[10:11]
	s_cbranch_execz .LBB0_6
; %bb.3:
	s_load_dwordx2 s[2:3], s[0:1], 0x10
	s_load_dwordx2 s[4:5], s[0:1], 0x50
	v_mul_lo_u16_e32 v1, 10, v2
	v_sub_u16_e32 v15, v0, v1
	v_mov_b32_e32 v11, 0
	s_waitcnt lgkmcnt(0)
	s_load_dwordx2 s[2:3], s[2:3], 0x8
	v_lshlrev_b32_e32 v10, 4, v15
	s_waitcnt lgkmcnt(0)
	v_mad_u64_u32 v[0:1], s[12:13], s2, v8, 0
	v_mov_b32_e32 v2, v1
	v_mad_u64_u32 v[4:5], s[2:3], s3, v8, v[2:3]
	v_mov_b32_e32 v1, v4
	v_lshl_add_u64 v[0:1], v[0:1], 4, s[4:5]
	v_lshl_add_u64 v[32:33], v[0:1], 0, v[10:11]
	global_load_dwordx4 v[4:7], v[32:33], off
	global_load_dwordx4 v[16:19], v[32:33], off offset:160
	global_load_dwordx4 v[20:23], v[32:33], off offset:320
	global_load_dwordx4 v[24:27], v[32:33], off offset:480
	global_load_dwordx4 v[28:31], v[32:33], off offset:640
	v_cmp_eq_u16_e64 s[2:3], 9, v15
	v_add3_u32 v2, 0, v13, v10
	v_mov_b32_e32 v10, v15
	s_waitcnt vmcnt(4)
	ds_write_b128 v2, v[4:7]
	s_waitcnt vmcnt(3)
	ds_write_b128 v2, v[16:19] offset:160
	s_waitcnt vmcnt(2)
	ds_write_b128 v2, v[20:23] offset:320
	;; [unrolled: 2-line block ×4, first 2 shown]
	s_and_saveexec_b64 s[4:5], s[2:3]
	s_cbranch_execz .LBB0_5
; %bb.4:
	global_load_dwordx4 v[4:7], v[0:1], off offset:800
	v_mov_b32_e32 v15, 9
	v_mov_b32_e32 v10, 9
	s_waitcnt vmcnt(0)
	ds_write_b128 v2, v[4:7] offset:656
.LBB0_5:
	s_or_b64 exec, exec, s[4:5]
.LBB0_6:
	s_or_b64 exec, exec, s[10:11]
	v_lshl_add_u32 v9, v3, 4, 0
	v_lshlrev_b32_e32 v14, 4, v10
	v_add_u32_e32 v12, v9, v14
	s_waitcnt lgkmcnt(0)
	; wave barrier
	s_waitcnt lgkmcnt(0)
	v_sub_u32_e32 v16, v9, v14
	ds_read_b64 v[4:5], v12
	ds_read_b64 v[6:7], v16 offset:800
	v_cmp_ne_u16_e64 s[2:3], 0, v15
	s_waitcnt lgkmcnt(0)
	v_add_f64 v[0:1], v[4:5], v[6:7]
	v_add_f64 v[2:3], v[4:5], -v[6:7]
	s_and_saveexec_b64 s[4:5], s[2:3]
	s_xor_b64 s[2:3], exec, s[4:5]
	s_cbranch_execz .LBB0_8
; %bb.7:
	v_mov_b32_e32 v0, 4
	v_lshlrev_b32_sdwa v0, v0, v15 dst_sel:DWORD dst_unused:UNUSED_PAD src0_sel:DWORD src1_sel:WORD_0
	global_load_dwordx4 v[18:21], v0, s[8:9] offset:768
	ds_read_b64 v[0:1], v16 offset:808
	ds_read_b64 v[2:3], v12 offset:8
	v_add_f64 v[22:23], v[4:5], v[6:7]
	v_add_f64 v[24:25], v[4:5], -v[6:7]
	s_waitcnt lgkmcnt(0)
	v_add_f64 v[26:27], v[0:1], v[2:3]
	v_add_f64 v[0:1], v[2:3], -v[0:1]
	s_waitcnt vmcnt(0)
	v_fma_f64 v[4:5], -v[24:25], v[20:21], v[22:23]
	v_fma_f64 v[6:7], v[26:27], v[20:21], -v[0:1]
	v_fma_f64 v[28:29], v[24:25], v[20:21], v[22:23]
	v_fma_f64 v[2:3], v[26:27], v[20:21], v[0:1]
	v_fmac_f64_e32 v[4:5], v[26:27], v[18:19]
	v_fmac_f64_e32 v[6:7], v[24:25], v[18:19]
	v_fma_f64 v[0:1], -v[26:27], v[18:19], v[28:29]
	v_fmac_f64_e32 v[2:3], v[24:25], v[18:19]
	ds_write_b128 v16, v[4:7] offset:800
.LBB0_8:
	s_andn2_saveexec_b64 s[2:3], s[2:3]
	s_cbranch_execz .LBB0_10
; %bb.9:
	ds_read_b128 v[4:7], v9 offset:400
	s_waitcnt lgkmcnt(0)
	v_add_f64 v[4:5], v[4:5], v[4:5]
	v_mul_f64 v[6:7], v[6:7], -2.0
	ds_write_b128 v9, v[4:7] offset:400
.LBB0_10:
	s_or_b64 exec, exec, s[2:3]
	s_add_u32 s2, s8, 0x300
	s_addc_u32 s3, s9, 0
	v_mov_b32_e32 v11, 0
	v_lshl_add_u64 v[4:5], v[10:11], 4, s[2:3]
	global_load_dwordx4 v[18:21], v[4:5], off offset:160
	ds_write_b128 v12, v[0:3]
	ds_read_b128 v[0:3], v12 offset:160
	ds_read_b128 v[22:25], v16 offset:640
	v_cmp_gt_u16_e64 s[2:3], 5, v15
	s_waitcnt lgkmcnt(0)
	v_add_f64 v[6:7], v[0:1], v[22:23]
	v_add_f64 v[26:27], v[24:25], v[2:3]
	v_add_f64 v[28:29], v[0:1], -v[22:23]
	v_add_f64 v[0:1], v[2:3], -v[24:25]
	s_waitcnt vmcnt(0)
	v_fma_f64 v[30:31], v[28:29], v[20:21], v[6:7]
	v_fma_f64 v[2:3], v[26:27], v[20:21], v[0:1]
	v_fma_f64 v[22:23], -v[28:29], v[20:21], v[6:7]
	v_fma_f64 v[24:25], v[26:27], v[20:21], -v[0:1]
	v_fma_f64 v[0:1], -v[26:27], v[18:19], v[30:31]
	v_fmac_f64_e32 v[2:3], v[28:29], v[18:19]
	v_fmac_f64_e32 v[22:23], v[26:27], v[18:19]
	;; [unrolled: 1-line block ×3, first 2 shown]
	ds_write_b128 v12, v[0:3] offset:160
	ds_write_b128 v16, v[22:25] offset:640
	s_and_saveexec_b64 s[4:5], s[2:3]
	s_cbranch_execz .LBB0_12
; %bb.11:
	global_load_dwordx4 v[0:3], v[4:5], off offset:320
	ds_read_b128 v[4:7], v12 offset:320
	ds_read_b128 v[18:21], v16 offset:480
	s_waitcnt lgkmcnt(0)
	v_add_f64 v[22:23], v[4:5], v[18:19]
	v_add_f64 v[24:25], v[20:21], v[6:7]
	v_add_f64 v[26:27], v[4:5], -v[18:19]
	v_add_f64 v[6:7], v[6:7], -v[20:21]
	s_waitcnt vmcnt(0)
	v_fma_f64 v[28:29], v[26:27], v[2:3], v[22:23]
	v_fma_f64 v[4:5], v[24:25], v[2:3], v[6:7]
	v_fma_f64 v[18:19], -v[26:27], v[2:3], v[22:23]
	v_fma_f64 v[20:21], v[24:25], v[2:3], -v[6:7]
	v_fma_f64 v[2:3], -v[24:25], v[0:1], v[28:29]
	v_fmac_f64_e32 v[4:5], v[26:27], v[0:1]
	v_fmac_f64_e32 v[18:19], v[24:25], v[0:1]
	;; [unrolled: 1-line block ×3, first 2 shown]
	ds_write_b128 v12, v[2:5] offset:320
	ds_write_b128 v16, v[18:21] offset:480
.LBB0_12:
	s_or_b64 exec, exec, s[4:5]
	v_add3_u32 v11, 0, v14, v13
	s_waitcnt lgkmcnt(0)
	; wave barrier
	s_waitcnt lgkmcnt(0)
	s_waitcnt lgkmcnt(0)
	; wave barrier
	s_waitcnt lgkmcnt(0)
	ds_read_b128 v[16:19], v11 offset:400
	ds_read_b128 v[20:23], v12
	ds_read_b128 v[24:27], v11 offset:160
	ds_read_b128 v[0:3], v11 offset:320
	ds_read_b128 v[28:31], v11 offset:560
	ds_read_b128 v[4:7], v11 offset:720
	s_waitcnt lgkmcnt(4)
	v_add_f64 v[16:17], v[20:21], -v[16:17]
	v_add_f64 v[18:19], v[22:23], -v[18:19]
	v_lshlrev_b32_e32 v15, 5, v10
	v_fma_f64 v[20:21], v[20:21], 2.0, -v[16:17]
	v_fma_f64 v[22:23], v[22:23], 2.0, -v[18:19]
	s_waitcnt lgkmcnt(1)
	v_add_f64 v[28:29], v[24:25], -v[28:29]
	v_add_f64 v[30:31], v[26:27], -v[30:31]
	v_add_u32_e32 v14, v11, v14
	v_fma_f64 v[24:25], v[24:25], 2.0, -v[28:29]
	v_fma_f64 v[26:27], v[26:27], 2.0, -v[30:31]
	s_waitcnt lgkmcnt(0)
	; wave barrier
	s_waitcnt lgkmcnt(0)
	ds_write_b128 v14, v[20:23]
	ds_write_b128 v14, v[16:19] offset:16
	v_add3_u32 v14, v15, 0, v13
	ds_write_b128 v14, v[24:27] offset:320
	ds_write_b128 v14, v[28:31] offset:336
	s_and_saveexec_b64 s[4:5], s[2:3]
	s_cbranch_execz .LBB0_14
; %bb.13:
	v_add_f64 v[6:7], v[2:3], -v[6:7]
	v_add_f64 v[4:5], v[0:1], -v[4:5]
	v_fma_f64 v[2:3], v[2:3], 2.0, -v[6:7]
	v_fma_f64 v[0:1], v[0:1], 2.0, -v[4:5]
	ds_write_b128 v14, v[0:3] offset:640
	ds_write_b128 v14, v[4:7] offset:656
.LBB0_14:
	s_or_b64 exec, exec, s[4:5]
	v_and_b32_e32 v58, 1, v10
	v_lshlrev_b32_e32 v22, 6, v58
	s_waitcnt lgkmcnt(0)
	; wave barrier
	s_waitcnt lgkmcnt(0)
	global_load_dwordx4 v[0:3], v22, s[8:9]
	global_load_dwordx4 v[4:7], v22, s[8:9] offset:16
	global_load_dwordx4 v[14:17], v22, s[8:9] offset:32
	;; [unrolled: 1-line block ×3, first 2 shown]
	ds_read_b128 v[22:25], v12
	ds_read_b128 v[26:29], v11 offset:160
	ds_read_b128 v[30:33], v11 offset:320
	;; [unrolled: 1-line block ×4, first 2 shown]
	s_mov_b32 s4, 0x134454ff
	s_mov_b32 s5, 0xbfee6f0e
	s_mov_b32 s2, 0x4755a5e
	s_mov_b32 s13, 0x3fee6f0e
	s_mov_b32 s12, s4
	s_mov_b32 s3, 0xbfe2cf23
	s_mov_b32 s10, 0x372fe950
	s_mov_b32 s15, 0x3fe2cf23
	s_mov_b32 s14, s2
	s_mov_b32 s11, 0x3fd3c6ef
	s_waitcnt lgkmcnt(0)
	; wave barrier
	s_waitcnt vmcnt(3) lgkmcnt(0)
	v_mul_f64 v[42:43], v[28:29], v[2:3]
	v_mul_f64 v[2:3], v[26:27], v[2:3]
	s_waitcnt vmcnt(2)
	v_mul_f64 v[44:45], v[32:33], v[6:7]
	v_mul_f64 v[6:7], v[30:31], v[6:7]
	s_waitcnt vmcnt(1)
	;; [unrolled: 3-line block ×3, first 2 shown]
	v_mul_f64 v[48:49], v[40:41], v[20:21]
	v_mul_f64 v[20:21], v[38:39], v[20:21]
	v_fmac_f64_e32 v[42:43], v[26:27], v[0:1]
	v_fma_f64 v[0:1], v[28:29], v[0:1], -v[2:3]
	v_fmac_f64_e32 v[44:45], v[30:31], v[4:5]
	v_fma_f64 v[2:3], v[32:33], v[4:5], -v[6:7]
	;; [unrolled: 2-line block ×3, first 2 shown]
	v_fma_f64 v[28:29], v[40:41], v[18:19], -v[20:21]
	v_fmac_f64_e32 v[48:49], v[38:39], v[18:19]
	v_add_f64 v[6:7], v[44:45], v[46:47]
	v_add_f64 v[36:37], v[24:25], v[0:1]
	;; [unrolled: 1-line block ×5, first 2 shown]
	v_add_f64 v[20:21], v[0:1], -v[28:29]
	v_add_f64 v[30:31], v[2:3], -v[26:27]
	;; [unrolled: 1-line block ×4, first 2 shown]
	v_add_f64 v[18:19], v[42:43], v[48:49]
	v_add_f64 v[32:33], v[44:45], -v[42:43]
	v_add_f64 v[40:41], v[42:43], -v[48:49]
	;; [unrolled: 1-line block ×5, first 2 shown]
	v_fma_f64 v[0:1], -0.5, v[6:7], v[22:23]
	v_add_f64 v[6:7], v[36:37], v[2:3]
	v_fma_f64 v[2:3], -0.5, v[38:39], v[24:25]
	v_fmac_f64_e32 v[24:25], -0.5, v[54:55]
	v_add_f64 v[52:53], v[28:29], -v[26:27]
	v_add_f64 v[4:5], v[4:5], v[44:45]
	v_add_f64 v[44:45], v[14:15], v[16:17]
	;; [unrolled: 1-line block ×3, first 2 shown]
	v_fma_f64 v[16:17], s[4:5], v[42:43], v[24:25]
	v_add_f64 v[26:27], v[26:27], -v[28:29]
	v_fmac_f64_e32 v[24:25], s[12:13], v[42:43]
	v_fmac_f64_e32 v[16:17], s[14:15], v[40:41]
	v_add_f64 v[26:27], v[56:57], v[26:27]
	v_fmac_f64_e32 v[24:25], s[2:3], v[40:41]
	v_fmac_f64_e32 v[16:17], s[10:11], v[26:27]
	;; [unrolled: 1-line block ×3, first 2 shown]
	v_lshrrev_b32_e32 v26, 1, v10
	v_mul_u32_u24_e32 v26, 10, v26
	v_fmac_f64_e32 v[22:23], -0.5, v[18:19]
	v_add_f64 v[18:19], v[4:5], v[46:47]
	v_fma_f64 v[4:5], s[4:5], v[20:21], v[0:1]
	v_fmac_f64_e32 v[0:1], s[12:13], v[20:21]
	v_or_b32_e32 v26, v26, v58
	v_add_f64 v[34:35], v[46:47], -v[48:49]
	v_fma_f64 v[14:15], s[12:13], v[30:31], v[22:23]
	v_fmac_f64_e32 v[22:23], s[4:5], v[30:31]
	v_fma_f64 v[6:7], s[12:13], v[40:41], v[2:3]
	v_fmac_f64_e32 v[2:3], s[4:5], v[40:41]
	v_fmac_f64_e32 v[0:1], s[14:15], v[30:31]
	v_lshlrev_b32_e32 v26, 4, v26
	v_add_f64 v[32:33], v[32:33], v[34:35]
	v_add_f64 v[34:35], v[50:51], v[52:53]
	;; [unrolled: 1-line block ×3, first 2 shown]
	v_fmac_f64_e32 v[4:5], s[2:3], v[30:31]
	v_fmac_f64_e32 v[14:15], s[2:3], v[20:21]
	;; [unrolled: 1-line block ×3, first 2 shown]
	v_add_f64 v[20:21], v[36:37], v[28:29]
	v_fmac_f64_e32 v[6:7], s[14:15], v[42:43]
	v_fmac_f64_e32 v[2:3], s[2:3], v[42:43]
	v_fmac_f64_e32 v[0:1], s[10:11], v[44:45]
	v_add3_u32 v13, 0, v26, v13
	v_fmac_f64_e32 v[4:5], s[10:11], v[44:45]
	v_fmac_f64_e32 v[14:15], s[10:11], v[32:33]
	;; [unrolled: 1-line block ×5, first 2 shown]
	ds_write_b128 v13, v[18:21]
	ds_write_b128 v13, v[4:7] offset:32
	ds_write_b128 v13, v[14:17] offset:64
	;; [unrolled: 1-line block ×4, first 2 shown]
	v_lshlrev_b32_e32 v0, 2, v10
	v_mov_b32_e32 v1, 0
	v_lshl_add_u64 v[6:7], v[0:1], 4, s[8:9]
	s_waitcnt lgkmcnt(0)
	; wave barrier
	s_waitcnt lgkmcnt(0)
	global_load_dwordx4 v[2:5], v[6:7], off offset:128
	global_load_dwordx4 v[14:17], v[6:7], off offset:144
	;; [unrolled: 1-line block ×4, first 2 shown]
	ds_read_b128 v[26:29], v11 offset:160
	ds_read_b128 v[30:33], v12
	ds_read_b128 v[34:37], v11 offset:320
	ds_read_b128 v[38:41], v11 offset:480
	;; [unrolled: 1-line block ×3, first 2 shown]
	s_waitcnt lgkmcnt(0)
	; wave barrier
	s_waitcnt vmcnt(3) lgkmcnt(0)
	v_mul_f64 v[6:7], v[28:29], v[4:5]
	s_waitcnt vmcnt(2)
	v_mul_f64 v[12:13], v[36:37], v[16:17]
	s_waitcnt vmcnt(1)
	;; [unrolled: 2-line block ×3, first 2 shown]
	v_mul_f64 v[48:49], v[44:45], v[24:25]
	v_mul_f64 v[4:5], v[26:27], v[4:5]
	;; [unrolled: 1-line block ×4, first 2 shown]
	v_fmac_f64_e32 v[6:7], v[26:27], v[2:3]
	v_fmac_f64_e32 v[12:13], v[34:35], v[14:15]
	;; [unrolled: 1-line block ×4, first 2 shown]
	v_mul_f64 v[24:25], v[42:43], v[24:25]
	v_fma_f64 v[26:27], v[28:29], v[2:3], -v[4:5]
	v_fma_f64 v[28:29], v[36:37], v[14:15], -v[16:17]
	;; [unrolled: 1-line block ×3, first 2 shown]
	v_add_f64 v[2:3], v[30:31], v[6:7]
	v_add_f64 v[4:5], v[12:13], v[46:47]
	;; [unrolled: 1-line block ×3, first 2 shown]
	v_fma_f64 v[24:25], v[44:45], v[22:23], -v[24:25]
	v_add_f64 v[22:23], v[28:29], -v[34:35]
	v_add_f64 v[14:15], v[6:7], -v[12:13]
	;; [unrolled: 1-line block ×4, first 2 shown]
	v_add_f64 v[40:41], v[32:33], v[26:27]
	v_add_f64 v[42:43], v[28:29], v[34:35]
	v_add_f64 v[44:45], v[12:13], -v[46:47]
	v_add_f64 v[12:13], v[2:3], v[12:13]
	v_fma_f64 v[2:3], -0.5, v[4:5], v[30:31]
	v_fmac_f64_e32 v[30:31], -0.5, v[20:21]
	v_add_f64 v[18:19], v[26:27], -v[24:25]
	v_add_f64 v[38:39], v[46:47], -v[48:49]
	v_add_f64 v[6:7], v[6:7], -v[48:49]
	v_add_f64 v[52:53], v[14:15], v[16:17]
	v_add_f64 v[14:15], v[40:41], v[28:29]
	v_fma_f64 v[4:5], -0.5, v[42:43], v[32:33]
	v_fma_f64 v[16:17], s[12:13], v[22:23], v[30:31]
	v_fmac_f64_e32 v[30:31], s[4:5], v[22:23]
	v_add_f64 v[50:51], v[26:27], -v[28:29]
	v_add_f64 v[36:37], v[36:37], v[38:39]
	v_add_f64 v[20:21], v[12:13], v[46:47]
	v_fma_f64 v[12:13], s[4:5], v[18:19], v[2:3]
	v_fmac_f64_e32 v[2:3], s[12:13], v[18:19]
	v_add_f64 v[38:39], v[14:15], v[34:35]
	v_fma_f64 v[14:15], s[12:13], v[6:7], v[4:5]
	v_fmac_f64_e32 v[16:17], s[2:3], v[18:19]
	v_fmac_f64_e32 v[30:31], s[14:15], v[18:19]
	v_add_f64 v[18:19], v[24:25], -v[34:35]
	v_fmac_f64_e32 v[4:5], s[4:5], v[6:7]
	v_fmac_f64_e32 v[14:15], s[14:15], v[44:45]
	v_add_f64 v[18:19], v[50:51], v[18:19]
	v_fmac_f64_e32 v[4:5], s[2:3], v[44:45]
	v_fmac_f64_e32 v[14:15], s[10:11], v[18:19]
	;; [unrolled: 1-line block ×3, first 2 shown]
	v_add_f64 v[18:19], v[26:27], v[24:25]
	v_fmac_f64_e32 v[32:33], -0.5, v[18:19]
	v_fmac_f64_e32 v[12:13], s[2:3], v[22:23]
	v_fmac_f64_e32 v[2:3], s[14:15], v[22:23]
	v_add_f64 v[22:23], v[38:39], v[24:25]
	v_fma_f64 v[18:19], s[4:5], v[44:45], v[32:33]
	v_add_f64 v[26:27], v[28:29], -v[26:27]
	v_add_f64 v[24:25], v[34:35], -v[24:25]
	v_fmac_f64_e32 v[32:33], s[12:13], v[44:45]
	v_add_f64 v[20:21], v[20:21], v[48:49]
	v_fmac_f64_e32 v[18:19], s[14:15], v[6:7]
	v_add_f64 v[24:25], v[26:27], v[24:25]
	v_fmac_f64_e32 v[32:33], s[2:3], v[6:7]
	v_fmac_f64_e32 v[12:13], s[10:11], v[52:53]
	;; [unrolled: 1-line block ×7, first 2 shown]
	ds_write_b128 v11, v[20:23]
	ds_write_b128 v11, v[12:15] offset:160
	ds_write_b128 v11, v[16:19] offset:320
	;; [unrolled: 1-line block ×4, first 2 shown]
	s_waitcnt lgkmcnt(0)
	; wave barrier
	s_waitcnt lgkmcnt(0)
	s_and_saveexec_b64 s[2:3], vcc
	s_cbranch_execz .LBB0_16
; %bb.15:
	v_mad_u64_u32 v[6:7], s[2:3], s6, v8, 0
	s_load_dwordx2 s[0:1], s[0:1], 0x58
	v_mov_b32_e32 v0, v7
	v_mad_u64_u32 v[2:3], s[2:3], s7, v8, v[0:1]
	v_lshl_add_u32 v16, v10, 4, v9
	v_mov_b32_e32 v7, v2
	ds_read_b128 v[2:5], v16
	v_mov_b32_e32 v11, v1
	s_waitcnt lgkmcnt(0)
	v_lshl_add_u64 v[12:13], v[6:7], 4, s[0:1]
	ds_read_b128 v[6:9], v16 offset:160
	v_lshl_add_u64 v[14:15], v[10:11], 4, v[12:13]
	global_store_dwordx4 v[14:15], v[2:5], off
	ds_read_b128 v[2:5], v16 offset:320
	v_add_u32_e32 v0, 10, v10
	v_lshl_add_u64 v[14:15], v[0:1], 4, v[12:13]
	v_add_u32_e32 v0, 20, v10
	s_waitcnt lgkmcnt(1)
	global_store_dwordx4 v[14:15], v[6:9], off
	ds_read_b128 v[6:9], v16 offset:480
	v_lshl_add_u64 v[14:15], v[0:1], 4, v[12:13]
	s_waitcnt lgkmcnt(1)
	global_store_dwordx4 v[14:15], v[2:5], off
	ds_read_b128 v[2:5], v16 offset:640
	v_add_u32_e32 v0, 30, v10
	v_lshl_add_u64 v[14:15], v[0:1], 4, v[12:13]
	v_add_u32_e32 v0, 40, v10
	v_lshl_add_u64 v[0:1], v[0:1], 4, v[12:13]
	s_waitcnt lgkmcnt(1)
	global_store_dwordx4 v[14:15], v[6:9], off
	s_waitcnt lgkmcnt(0)
	global_store_dwordx4 v[0:1], v[2:5], off
.LBB0_16:
	s_endpgm
	.section	.rodata,"a",@progbits
	.p2align	6, 0x0
	.amdhsa_kernel fft_rtc_back_len50_factors_2_5_5_wgs_60_tpt_10_halfLds_dim1_dp_op_CI_CI_unitstride_sbrr_C2R_dirReg
		.amdhsa_group_segment_fixed_size 0
		.amdhsa_private_segment_fixed_size 0
		.amdhsa_kernarg_size 96
		.amdhsa_user_sgpr_count 2
		.amdhsa_user_sgpr_dispatch_ptr 0
		.amdhsa_user_sgpr_queue_ptr 0
		.amdhsa_user_sgpr_kernarg_segment_ptr 1
		.amdhsa_user_sgpr_dispatch_id 0
		.amdhsa_user_sgpr_kernarg_preload_length 0
		.amdhsa_user_sgpr_kernarg_preload_offset 0
		.amdhsa_user_sgpr_private_segment_size 0
		.amdhsa_uses_dynamic_stack 0
		.amdhsa_enable_private_segment 0
		.amdhsa_system_sgpr_workgroup_id_x 1
		.amdhsa_system_sgpr_workgroup_id_y 0
		.amdhsa_system_sgpr_workgroup_id_z 0
		.amdhsa_system_sgpr_workgroup_info 0
		.amdhsa_system_vgpr_workitem_id 0
		.amdhsa_next_free_vgpr 59
		.amdhsa_next_free_sgpr 16
		.amdhsa_accum_offset 60
		.amdhsa_reserve_vcc 1
		.amdhsa_float_round_mode_32 0
		.amdhsa_float_round_mode_16_64 0
		.amdhsa_float_denorm_mode_32 3
		.amdhsa_float_denorm_mode_16_64 3
		.amdhsa_dx10_clamp 1
		.amdhsa_ieee_mode 1
		.amdhsa_fp16_overflow 0
		.amdhsa_tg_split 0
		.amdhsa_exception_fp_ieee_invalid_op 0
		.amdhsa_exception_fp_denorm_src 0
		.amdhsa_exception_fp_ieee_div_zero 0
		.amdhsa_exception_fp_ieee_overflow 0
		.amdhsa_exception_fp_ieee_underflow 0
		.amdhsa_exception_fp_ieee_inexact 0
		.amdhsa_exception_int_div_zero 0
	.end_amdhsa_kernel
	.text
.Lfunc_end0:
	.size	fft_rtc_back_len50_factors_2_5_5_wgs_60_tpt_10_halfLds_dim1_dp_op_CI_CI_unitstride_sbrr_C2R_dirReg, .Lfunc_end0-fft_rtc_back_len50_factors_2_5_5_wgs_60_tpt_10_halfLds_dim1_dp_op_CI_CI_unitstride_sbrr_C2R_dirReg
                                        ; -- End function
	.section	.AMDGPU.csdata,"",@progbits
; Kernel info:
; codeLenInByte = 2828
; NumSgprs: 22
; NumVgprs: 59
; NumAgprs: 0
; TotalNumVgprs: 59
; ScratchSize: 0
; MemoryBound: 0
; FloatMode: 240
; IeeeMode: 1
; LDSByteSize: 0 bytes/workgroup (compile time only)
; SGPRBlocks: 2
; VGPRBlocks: 7
; NumSGPRsForWavesPerEU: 22
; NumVGPRsForWavesPerEU: 59
; AccumOffset: 60
; Occupancy: 8
; WaveLimiterHint : 1
; COMPUTE_PGM_RSRC2:SCRATCH_EN: 0
; COMPUTE_PGM_RSRC2:USER_SGPR: 2
; COMPUTE_PGM_RSRC2:TRAP_HANDLER: 0
; COMPUTE_PGM_RSRC2:TGID_X_EN: 1
; COMPUTE_PGM_RSRC2:TGID_Y_EN: 0
; COMPUTE_PGM_RSRC2:TGID_Z_EN: 0
; COMPUTE_PGM_RSRC2:TIDIG_COMP_CNT: 0
; COMPUTE_PGM_RSRC3_GFX90A:ACCUM_OFFSET: 14
; COMPUTE_PGM_RSRC3_GFX90A:TG_SPLIT: 0
	.text
	.p2alignl 6, 3212836864
	.fill 256, 4, 3212836864
	.type	__hip_cuid_14742829dce25aaf,@object ; @__hip_cuid_14742829dce25aaf
	.section	.bss,"aw",@nobits
	.globl	__hip_cuid_14742829dce25aaf
__hip_cuid_14742829dce25aaf:
	.byte	0                               ; 0x0
	.size	__hip_cuid_14742829dce25aaf, 1

	.ident	"AMD clang version 19.0.0git (https://github.com/RadeonOpenCompute/llvm-project roc-6.4.0 25133 c7fe45cf4b819c5991fe208aaa96edf142730f1d)"
	.section	".note.GNU-stack","",@progbits
	.addrsig
	.addrsig_sym __hip_cuid_14742829dce25aaf
	.amdgpu_metadata
---
amdhsa.kernels:
  - .agpr_count:     0
    .args:
      - .actual_access:  read_only
        .address_space:  global
        .offset:         0
        .size:           8
        .value_kind:     global_buffer
      - .actual_access:  read_only
        .address_space:  global
        .offset:         8
        .size:           8
        .value_kind:     global_buffer
      - .actual_access:  read_only
        .address_space:  global
        .offset:         16
        .size:           8
        .value_kind:     global_buffer
      - .actual_access:  read_only
        .address_space:  global
        .offset:         24
        .size:           8
        .value_kind:     global_buffer
      - .offset:         32
        .size:           8
        .value_kind:     by_value
      - .actual_access:  read_only
        .address_space:  global
        .offset:         40
        .size:           8
        .value_kind:     global_buffer
      - .actual_access:  read_only
        .address_space:  global
        .offset:         48
        .size:           8
        .value_kind:     global_buffer
      - .offset:         56
        .size:           4
        .value_kind:     by_value
      - .actual_access:  read_only
        .address_space:  global
        .offset:         64
        .size:           8
        .value_kind:     global_buffer
      - .actual_access:  read_only
        .address_space:  global
        .offset:         72
        .size:           8
        .value_kind:     global_buffer
      - .actual_access:  read_only
        .address_space:  global
        .offset:         80
        .size:           8
        .value_kind:     global_buffer
      - .actual_access:  write_only
        .address_space:  global
        .offset:         88
        .size:           8
        .value_kind:     global_buffer
    .group_segment_fixed_size: 0
    .kernarg_segment_align: 8
    .kernarg_segment_size: 96
    .language:       OpenCL C
    .language_version:
      - 2
      - 0
    .max_flat_workgroup_size: 60
    .name:           fft_rtc_back_len50_factors_2_5_5_wgs_60_tpt_10_halfLds_dim1_dp_op_CI_CI_unitstride_sbrr_C2R_dirReg
    .private_segment_fixed_size: 0
    .sgpr_count:     22
    .sgpr_spill_count: 0
    .symbol:         fft_rtc_back_len50_factors_2_5_5_wgs_60_tpt_10_halfLds_dim1_dp_op_CI_CI_unitstride_sbrr_C2R_dirReg.kd
    .uniform_work_group_size: 1
    .uses_dynamic_stack: false
    .vgpr_count:     59
    .vgpr_spill_count: 0
    .wavefront_size: 64
amdhsa.target:   amdgcn-amd-amdhsa--gfx950
amdhsa.version:
  - 1
  - 2
...

	.end_amdgpu_metadata
